;; amdgpu-corpus repo=ROCm/rocFFT kind=compiled arch=gfx950 opt=O3
	.text
	.amdgcn_target "amdgcn-amd-amdhsa--gfx950"
	.amdhsa_code_object_version 6
	.protected	fft_rtc_fwd_len728_factors_13_7_8_wgs_104_tpt_104_halfLds_sp_op_CI_CI_unitstride_sbrr_dirReg ; -- Begin function fft_rtc_fwd_len728_factors_13_7_8_wgs_104_tpt_104_halfLds_sp_op_CI_CI_unitstride_sbrr_dirReg
	.globl	fft_rtc_fwd_len728_factors_13_7_8_wgs_104_tpt_104_halfLds_sp_op_CI_CI_unitstride_sbrr_dirReg
	.p2align	8
	.type	fft_rtc_fwd_len728_factors_13_7_8_wgs_104_tpt_104_halfLds_sp_op_CI_CI_unitstride_sbrr_dirReg,@function
fft_rtc_fwd_len728_factors_13_7_8_wgs_104_tpt_104_halfLds_sp_op_CI_CI_unitstride_sbrr_dirReg: ; @fft_rtc_fwd_len728_factors_13_7_8_wgs_104_tpt_104_halfLds_sp_op_CI_CI_unitstride_sbrr_dirReg
; %bb.0:
	s_load_dwordx4 s[4:7], s[0:1], 0x58
	s_load_dwordx4 s[8:11], s[0:1], 0x0
	;; [unrolled: 1-line block ×3, first 2 shown]
	v_mul_u32_u24_e32 v1, 0x277, v0
	v_add_u32_sdwa v8, s2, v1 dst_sel:DWORD dst_unused:UNUSED_PAD src0_sel:DWORD src1_sel:WORD_1
	v_mov_b32_e32 v6, 0
	s_waitcnt lgkmcnt(0)
	v_cmp_lt_u64_e64 s[2:3], s[10:11], 2
	v_mov_b32_e32 v9, v6
	s_and_b64 vcc, exec, s[2:3]
	v_mov_b64_e32 v[12:13], 0
	s_cbranch_vccnz .LBB0_8
; %bb.1:
	s_load_dwordx2 s[2:3], s[0:1], 0x10
	s_add_u32 s16, s14, 8
	s_addc_u32 s17, s15, 0
	s_add_u32 s18, s12, 8
	s_addc_u32 s19, s13, 0
	s_waitcnt lgkmcnt(0)
	s_add_u32 s20, s2, 8
	v_mov_b64_e32 v[12:13], 0
	s_addc_u32 s21, s3, 0
	s_mov_b64 s[22:23], 1
	v_mov_b64_e32 v[2:3], v[12:13]
.LBB0_2:                                ; =>This Inner Loop Header: Depth=1
	s_load_dwordx2 s[24:25], s[20:21], 0x0
                                        ; implicit-def: $vgpr4_vgpr5
	s_waitcnt lgkmcnt(0)
	v_or_b32_e32 v7, s25, v9
	v_cmp_ne_u64_e32 vcc, 0, v[6:7]
	s_and_saveexec_b64 s[2:3], vcc
	s_xor_b64 s[26:27], exec, s[2:3]
	s_cbranch_execz .LBB0_4
; %bb.3:                                ;   in Loop: Header=BB0_2 Depth=1
	v_cvt_f32_u32_e32 v1, s24
	v_cvt_f32_u32_e32 v4, s25
	s_sub_u32 s2, 0, s24
	s_subb_u32 s3, 0, s25
	v_fmac_f32_e32 v1, 0x4f800000, v4
	v_rcp_f32_e32 v1, v1
	s_nop 0
	v_mul_f32_e32 v1, 0x5f7ffffc, v1
	v_mul_f32_e32 v4, 0x2f800000, v1
	v_trunc_f32_e32 v4, v4
	v_fmac_f32_e32 v1, 0xcf800000, v4
	v_cvt_u32_f32_e32 v7, v4
	v_cvt_u32_f32_e32 v1, v1
	v_mul_lo_u32 v4, s2, v7
	v_mul_hi_u32 v10, s2, v1
	v_mul_lo_u32 v5, s3, v1
	v_add_u32_e32 v10, v10, v4
	v_mul_lo_u32 v14, s2, v1
	v_add_u32_e32 v15, v10, v5
	v_mul_hi_u32 v4, v1, v14
	v_mul_hi_u32 v11, v1, v15
	v_mul_lo_u32 v10, v1, v15
	v_mov_b32_e32 v5, v6
	v_lshl_add_u64 v[4:5], v[4:5], 0, v[10:11]
	v_mul_hi_u32 v11, v7, v14
	v_mul_lo_u32 v14, v7, v14
	v_add_co_u32_e32 v4, vcc, v4, v14
	v_mul_hi_u32 v10, v7, v15
	s_nop 0
	v_addc_co_u32_e32 v4, vcc, v5, v11, vcc
	v_mov_b32_e32 v5, v6
	s_nop 0
	v_addc_co_u32_e32 v11, vcc, 0, v10, vcc
	v_mul_lo_u32 v10, v7, v15
	v_lshl_add_u64 v[4:5], v[4:5], 0, v[10:11]
	v_add_co_u32_e32 v1, vcc, v1, v4
	v_mul_lo_u32 v10, s2, v1
	s_nop 0
	v_addc_co_u32_e32 v7, vcc, v7, v5, vcc
	v_mul_lo_u32 v4, s2, v7
	v_mul_hi_u32 v5, s2, v1
	v_add_u32_e32 v4, v5, v4
	v_mul_lo_u32 v5, s3, v1
	v_add_u32_e32 v14, v4, v5
	v_mul_hi_u32 v16, v7, v10
	v_mul_lo_u32 v17, v7, v10
	v_mul_hi_u32 v5, v1, v14
	v_mul_lo_u32 v4, v1, v14
	v_mul_hi_u32 v10, v1, v10
	v_mov_b32_e32 v11, v6
	v_lshl_add_u64 v[4:5], v[10:11], 0, v[4:5]
	v_add_co_u32_e32 v4, vcc, v4, v17
	v_mul_hi_u32 v15, v7, v14
	s_nop 0
	v_addc_co_u32_e32 v4, vcc, v5, v16, vcc
	v_mul_lo_u32 v10, v7, v14
	s_nop 0
	v_addc_co_u32_e32 v11, vcc, 0, v15, vcc
	v_mov_b32_e32 v5, v6
	v_lshl_add_u64 v[4:5], v[4:5], 0, v[10:11]
	v_add_co_u32_e32 v1, vcc, v1, v4
	v_mul_hi_u32 v10, v8, v1
	s_nop 0
	v_addc_co_u32_e32 v7, vcc, v7, v5, vcc
	v_mad_u64_u32 v[4:5], s[2:3], v8, v7, 0
	v_mov_b32_e32 v11, v6
	v_lshl_add_u64 v[4:5], v[10:11], 0, v[4:5]
	v_mad_u64_u32 v[14:15], s[2:3], v9, v1, 0
	v_add_co_u32_e32 v1, vcc, v4, v14
	v_mad_u64_u32 v[10:11], s[2:3], v9, v7, 0
	s_nop 0
	v_addc_co_u32_e32 v4, vcc, v5, v15, vcc
	v_mov_b32_e32 v5, v6
	s_nop 0
	v_addc_co_u32_e32 v11, vcc, 0, v11, vcc
	v_lshl_add_u64 v[4:5], v[4:5], 0, v[10:11]
	v_mul_lo_u32 v1, s25, v4
	v_mul_lo_u32 v7, s24, v5
	v_mad_u64_u32 v[10:11], s[2:3], s24, v4, 0
	v_add3_u32 v1, v11, v7, v1
	v_sub_u32_e32 v7, v9, v1
	v_mov_b32_e32 v11, s25
	v_sub_co_u32_e32 v16, vcc, v8, v10
	v_lshl_add_u64 v[14:15], v[4:5], 0, 1
	s_nop 0
	v_subb_co_u32_e64 v7, s[2:3], v7, v11, vcc
	v_subrev_co_u32_e64 v10, s[2:3], s24, v16
	v_subb_co_u32_e32 v1, vcc, v9, v1, vcc
	s_nop 0
	v_subbrev_co_u32_e64 v7, s[2:3], 0, v7, s[2:3]
	v_cmp_le_u32_e64 s[2:3], s25, v7
	v_cmp_le_u32_e32 vcc, s25, v1
	s_nop 0
	v_cndmask_b32_e64 v11, 0, -1, s[2:3]
	v_cmp_le_u32_e64 s[2:3], s24, v10
	s_nop 1
	v_cndmask_b32_e64 v10, 0, -1, s[2:3]
	v_cmp_eq_u32_e64 s[2:3], s25, v7
	s_nop 1
	v_cndmask_b32_e64 v7, v11, v10, s[2:3]
	v_lshl_add_u64 v[10:11], v[4:5], 0, 2
	v_cmp_ne_u32_e64 s[2:3], 0, v7
	s_nop 1
	v_cndmask_b32_e64 v7, v15, v11, s[2:3]
	v_cndmask_b32_e64 v11, 0, -1, vcc
	v_cmp_le_u32_e32 vcc, s24, v16
	s_nop 1
	v_cndmask_b32_e64 v15, 0, -1, vcc
	v_cmp_eq_u32_e32 vcc, s25, v1
	s_nop 1
	v_cndmask_b32_e32 v1, v11, v15, vcc
	v_cmp_ne_u32_e32 vcc, 0, v1
	v_cndmask_b32_e64 v1, v14, v10, s[2:3]
	s_nop 0
	v_cndmask_b32_e32 v5, v5, v7, vcc
	v_cndmask_b32_e32 v4, v4, v1, vcc
.LBB0_4:                                ;   in Loop: Header=BB0_2 Depth=1
	s_andn2_saveexec_b64 s[2:3], s[26:27]
	s_cbranch_execz .LBB0_6
; %bb.5:                                ;   in Loop: Header=BB0_2 Depth=1
	v_cvt_f32_u32_e32 v1, s24
	s_sub_i32 s26, 0, s24
	v_rcp_iflag_f32_e32 v1, v1
	s_nop 0
	v_mul_f32_e32 v1, 0x4f7ffffe, v1
	v_cvt_u32_f32_e32 v1, v1
	v_mul_lo_u32 v4, s26, v1
	v_mul_hi_u32 v4, v1, v4
	v_add_u32_e32 v1, v1, v4
	v_mul_hi_u32 v1, v8, v1
	v_mul_lo_u32 v4, v1, s24
	v_sub_u32_e32 v4, v8, v4
	v_add_u32_e32 v5, 1, v1
	v_subrev_u32_e32 v7, s24, v4
	v_cmp_le_u32_e32 vcc, s24, v4
	s_nop 1
	v_cndmask_b32_e32 v4, v4, v7, vcc
	v_cndmask_b32_e32 v1, v1, v5, vcc
	v_add_u32_e32 v5, 1, v1
	v_cmp_le_u32_e32 vcc, s24, v4
	s_nop 1
	v_cndmask_b32_e32 v4, v1, v5, vcc
	v_mov_b32_e32 v5, v6
.LBB0_6:                                ;   in Loop: Header=BB0_2 Depth=1
	s_or_b64 exec, exec, s[2:3]
	v_mad_u64_u32 v[10:11], s[2:3], v4, s24, 0
	s_load_dwordx2 s[2:3], s[18:19], 0x0
	v_mul_lo_u32 v1, v5, s24
	v_mul_lo_u32 v7, v4, s25
	s_load_dwordx2 s[24:25], s[16:17], 0x0
	s_add_u32 s22, s22, 1
	v_add3_u32 v1, v11, v7, v1
	v_sub_co_u32_e32 v7, vcc, v8, v10
	s_addc_u32 s23, s23, 0
	s_nop 0
	v_subb_co_u32_e32 v1, vcc, v9, v1, vcc
	s_add_u32 s16, s16, 8
	s_waitcnt lgkmcnt(0)
	v_mul_lo_u32 v8, s2, v1
	v_mul_lo_u32 v9, s3, v7
	v_mad_u64_u32 v[12:13], s[2:3], s2, v7, v[12:13]
	s_addc_u32 s17, s17, 0
	v_add3_u32 v13, v9, v13, v8
	v_mul_lo_u32 v1, s24, v1
	v_mul_lo_u32 v8, s25, v7
	v_mad_u64_u32 v[2:3], s[2:3], s24, v7, v[2:3]
	s_add_u32 s18, s18, 8
	v_add3_u32 v3, v8, v3, v1
	s_addc_u32 s19, s19, 0
	v_mov_b64_e32 v[8:9], s[10:11]
	s_add_u32 s20, s20, 8
	v_cmp_ge_u64_e32 vcc, s[22:23], v[8:9]
	s_addc_u32 s21, s21, 0
	s_cbranch_vccnz .LBB0_9
; %bb.7:                                ;   in Loop: Header=BB0_2 Depth=1
	v_mov_b64_e32 v[8:9], v[4:5]
	s_branch .LBB0_2
.LBB0_8:
	v_mov_b64_e32 v[2:3], v[12:13]
	v_mov_b64_e32 v[4:5], v[8:9]
.LBB0_9:
	s_load_dwordx2 s[0:1], s[0:1], 0x28
	s_mov_b32 s16, 0x2762763
	v_mul_hi_u32 v1, v0, s16
	v_mul_u32_u24_e32 v1, 0x68, v1
	s_lshl_b64 s[2:3], s[10:11], 3
	v_sub_u32_e32 v0, v0, v1
	s_add_u32 s10, s14, s2
	s_waitcnt lgkmcnt(0)
	v_cmp_gt_u64_e32 vcc, s[0:1], v[4:5]
	v_cmp_gt_u32_e64 s[0:1], 56, v0
	s_addc_u32 s11, s15, s3
	s_and_b64 s[16:17], vcc, s[0:1]
	v_mov_b32_e32 v23, 0
	v_mov_b32_e32 v56, 0
                                        ; implicit-def: $vgpr6
                                        ; implicit-def: $vgpr44
                                        ; implicit-def: $vgpr54
                                        ; implicit-def: $vgpr46
                                        ; implicit-def: $vgpr10
                                        ; implicit-def: $vgpr14
                                        ; implicit-def: $vgpr16
                                        ; implicit-def: $vgpr18
                                        ; implicit-def: $vgpr48
                                        ; implicit-def: $vgpr24
                                        ; implicit-def: $vgpr52
                                        ; implicit-def: $vgpr26
                                        ; implicit-def: $vgpr8
	s_and_saveexec_b64 s[14:15], s[16:17]
	s_cbranch_execz .LBB0_11
; %bb.10:
	s_add_u32 s2, s12, s2
	s_addc_u32 s3, s13, s3
	s_load_dwordx2 s[2:3], s[2:3], 0x0
	v_mov_b32_e32 v1, 0
	s_waitcnt lgkmcnt(0)
	v_mul_lo_u32 v8, s3, v4
	v_mul_lo_u32 v9, s2, v5
	v_mad_u64_u32 v[6:7], s[2:3], s2, v4, 0
	v_add3_u32 v7, v7, v9, v8
	v_lshl_add_u64 v[6:7], v[6:7], 3, s[4:5]
	v_lshl_add_u64 v[6:7], v[12:13], 3, v[6:7]
	;; [unrolled: 1-line block ×3, first 2 shown]
	global_load_dwordx2 v[56:57], v[12:13], off
	global_load_dwordx2 v[8:9], v[12:13], off offset:448
	global_load_dwordx2 v[6:7], v[12:13], off offset:1792
	;; [unrolled: 1-line block ×5, first 2 shown]
	s_movk_i32 s2, 0x1000
	v_add_co_u32_e64 v20, s[2:3], s2, v12
	s_waitcnt vmcnt(5)
	v_mov_b32_e32 v23, v57
	v_addc_co_u32_e64 v21, s[2:3], 0, v13, s[2:3]
	global_load_dwordx2 v[48:49], v[12:13], off offset:1344
	global_load_dwordx2 v[52:53], v[12:13], off offset:896
	;; [unrolled: 1-line block ×7, first 2 shown]
	s_waitcnt vmcnt(10)
	v_mov_b32_e32 v54, v7
	s_waitcnt vmcnt(9)
	v_mov_b32_e32 v22, v47
	;; [unrolled: 2-line block ×3, first 2 shown]
.LBB0_11:
	s_or_b64 exec, exec, s[14:15]
	v_mov_b32_e32 v45, v55
	v_pk_add_f32 v[60:61], v[8:9], v[44:45]
	v_pk_add_f32 v[58:59], v[8:9], v[44:45] neg_lo:[0,1] neg_hi:[0,1]
	v_mul_f32_e32 v45, 0xbf788fa5, v60
	v_fmamk_f32 v1, v59, 0xbe750f2a, v45
	s_waitcnt vmcnt(0)
	v_pk_add_f32 v[12:13], v[52:53], v[26:27]
	v_add_f32_e32 v7, v56, v1
	v_pk_add_f32 v[34:35], v[52:53], v[26:27] neg_lo:[0,1] neg_hi:[0,1]
	v_mul_f32_e32 v1, 0x3f62ad3f, v12
	v_fmamk_f32 v20, v35, 0x3eedf032, v1
	v_add_f32_e32 v7, v7, v20
	v_pk_add_f32 v[20:21], v[48:49], v[24:25]
	v_pk_add_f32 v[38:39], v[48:49], v[24:25] neg_lo:[0,1] neg_hi:[0,1]
	v_mul_f32_e32 v51, 0xbf3f9e67, v20
	v_fmamk_f32 v28, v39, 0xbf29c268, v51
	v_add_f32_e32 v30, v7, v28
	v_mov_b32_e32 v7, v54
	v_pk_add_f32 v[28:29], v[6:7], v[18:19]
	v_pk_add_f32 v[42:43], v[6:7], v[18:19] neg_lo:[0,1] neg_hi:[0,1]
	v_mul_f32_e32 v57, 0x3f116cb1, v28
	v_fmamk_f32 v7, v43, 0x3f52af12, v57
	v_add_f32_e32 v7, v30, v7
	v_pk_add_f32 v[30:31], v[14:15], v[16:17]
	v_pk_add_f32 v[36:37], v[14:15], v[16:17] neg_lo:[0,1] neg_hi:[0,1]
	v_mul_f32_e32 v64, 0xbeb58ec6, v30
	v_fmamk_f32 v32, v37, 0xbf6f5d39, v64
	v_mov_b32_e32 v47, v22
	v_add_f32_e32 v7, v7, v32
	v_pk_add_f32 v[32:33], v[10:11], v[46:47]
	v_pk_add_f32 v[40:41], v[10:11], v[46:47] neg_lo:[0,1] neg_hi:[0,1]
	v_mul_f32_e32 v65, 0x3df6dbef, v32
	s_mov_b32 s14, 0x3f62ad3f
	s_mov_b32 s20, 0xbeb58ec6
	;; [unrolled: 1-line block ×3, first 2 shown]
	v_fmamk_f32 v47, v41, 0x3f7e222b, v65
	s_mov_b32 s23, 0xbf788fa5
	s_mov_b32 s3, 0xbe750f2a
	;; [unrolled: 1-line block ×9, first 2 shown]
	v_add_f32_e32 v7, v7, v47
	v_mov_b32_e32 v50, v55
	s_and_saveexec_b64 s[4:5], s[0:1]
	s_cbranch_execz .LBB0_13
; %bb.12:
	s_mov_b32 s26, s21
	v_pk_mul_f32 v[62:63], v[60:61], s[20:21] op_sel_hi:[0,1]
	v_mov_b32_e32 v47, v56
	s_mov_b32 s24, 0x3f29c268
	v_pk_fma_f32 v[66:67], v[58:59], s[16:17], v[62:63] op_sel:[1,0,0]
	v_pk_mul_f32 v[68:69], v[12:13], s[26:27] op_sel_hi:[0,1]
	v_pk_add_f32 v[66:67], v[46:47], v[66:67] op_sel:[1,0]
	v_pk_fma_f32 v[70:71], v[34:35], s[24:25], v[68:69] op_sel:[1,0,0]
	s_mov_b32 s13, 0xbf52af12
	v_pk_add_f32 v[66:67], v[66:67], v[70:71]
	v_pk_mul_f32 v[70:71], v[20:21], s[14:15] op_sel_hi:[0,1]
	v_pk_fma_f32 v[72:73], v[38:39], s[12:13], v[70:71] op_sel:[1,0,0]
	s_mov_b32 s22, s27
	s_mov_b32 s28, 0xbf7e222b
	v_pk_add_f32 v[66:67], v[66:67], v[72:73]
	s_mov_b32 s29, 0x3e750f2a
	v_pk_mul_f32 v[72:73], v[28:29], s[22:23] op_sel_hi:[0,1]
	v_pk_fma_f32 v[74:75], v[42:43], s[28:29], v[72:73] op_sel:[1,0,0]
	s_mov_b32 s34, s23
	s_mov_b32 s35, s14
	v_pk_add_f32 v[66:67], v[66:67], v[74:75]
	s_mov_b32 s30, s29
	s_mov_b32 s31, s12
	v_pk_mul_f32 v[74:75], v[30:31], s[34:35] op_sel_hi:[0,1]
	v_pk_fma_f32 v[76:77], v[36:37], s[30:31], v[74:75] op_sel:[1,0,0]
	s_mov_b32 s34, s15
	s_mov_b32 s35, s20
	v_pk_add_f32 v[66:67], v[66:67], v[76:77]
	s_mov_b32 s19, s16
	v_pk_mul_f32 v[76:77], v[32:33], s[34:35] op_sel_hi:[0,1]
	v_pk_fma_f32 v[78:79], v[40:41], s[18:19], v[76:77] op_sel:[1,0,0]
	v_mad_u32_u24 v102, v0, 52, 0
	v_pk_add_f32 v[66:67], v[66:67], v[78:79]
	ds_write2_b32 v102, v67, v66 offset0:8 offset1:9
	v_mul_f32_e32 v66, 0xbe750f2a, v59
	v_sub_f32_e32 v45, v45, v66
	v_mov_b32_e32 v66, v60
	v_mov_b32_e32 v67, v59
	s_mov_b32 s35, 0xbeedf032
	s_mov_b32 s34, s14
	v_pk_mul_f32 v[78:79], v[66:67], s[34:35]
	v_add_f32_e32 v56, v56, v45
	v_mov_b32_e32 v45, v78
	v_pk_fma_f32 v[66:67], v[66:67], s[34:35], v[44:45] neg_lo:[1,0,0] neg_hi:[1,0,0]
	v_mov_b32_e32 v80, v12
	v_mov_b32_e32 v81, v35
	s_mov_b32 s34, s15
	s_mov_b32 s35, s13
	v_pk_mul_f32 v[82:83], v[80:81], s[34:35]
	v_mov_b32_e32 v84, v20
	v_mov_b32_e32 v45, v82
	v_pk_fma_f32 v[80:81], v[80:81], s[34:35], v[44:45] neg_lo:[1,0,0] neg_hi:[1,0,0]
	v_mov_b32_e32 v85, v39
	s_mov_b32 s34, s27
	s_mov_b32 s35, s28
	v_pk_mul_f32 v[86:87], v[84:85], s[34:35]
	v_mov_b32_e32 v88, v28
	v_mov_b32_e32 v45, v86
	v_pk_fma_f32 v[84:85], v[84:85], s[34:35], v[44:45] neg_lo:[1,0,0] neg_hi:[1,0,0]
	;; [unrolled: 7-line block ×5, first 2 shown]
	v_add_f32_e32 v45, v47, v8
	v_add_f32_e32 v45, v45, v52
	v_add_f32_e32 v45, v45, v48
	v_add_f32_e32 v6, v45, v6
	v_add_f32_e32 v6, v6, v14
	v_add_f32_e32 v66, v6, v10
	v_pk_add_f32 v[66:67], v[66:67], v[46:47]
	v_mov_b32_e32 v84, v18
	v_pk_add_f32 v[66:67], v[80:81], v[66:67]
	v_mov_b32_e32 v88, v24
	;; [unrolled: 2-line block ×4, first 2 shown]
	v_pk_add_f32 v[66:67], v[92:93], v[66:67]
	s_mov_b32 s26, s15
	v_pk_add_f32 v[66:67], v[44:45], v[66:67]
	v_pk_mul_f32 v[60:61], v[60:61], s[26:27] op_sel_hi:[0,1]
	s_mov_b32 s34, s13
	s_mov_b32 s35, s28
	;; [unrolled: 1-line block ×3, first 2 shown]
	ds_write2_b32 v102, v66, v67 offset1:1
	s_mov_b32 s2, s16
	v_pk_fma_f32 v[66:67], v[58:59], s[34:35], v[60:61] op_sel:[1,0,0] neg_lo:[1,0,0] neg_hi:[1,0,0]
	v_pk_mul_f32 v[80:81], v[12:13], s[22:23] op_sel_hi:[0,1]
	v_pk_add_f32 v[66:67], v[46:47], v[66:67] op_sel:[1,0]
	v_pk_fma_f32 v[84:85], v[34:35], s[2:3], v[80:81] op_sel:[1,0,0] neg_lo:[1,0,0] neg_hi:[1,0,0]
	s_mov_b32 s22, s23
	s_mov_b32 s23, s20
	v_pk_add_f32 v[66:67], v[66:67], v[84:85]
	s_mov_b32 s37, 0x3f6f5d39
	s_mov_b32 s36, s3
	v_pk_mul_f32 v[84:85], v[20:21], s[22:23] op_sel_hi:[0,1]
	v_pk_fma_f32 v[88:89], v[38:39], s[36:37], v[84:85] op_sel:[1,0,0] neg_lo:[1,0,0] neg_hi:[1,0,0]
	s_mov_b32 s22, s21
	s_mov_b32 s23, s14
	v_mul_f32_e32 v6, 0x3eedf032, v35
	v_pk_add_f32 v[66:67], v[66:67], v[88:89]
	s_mov_b32 s38, s24
	s_mov_b32 s39, s12
	v_pk_mul_f32 v[88:89], v[28:29], s[22:23] op_sel_hi:[0,1]
	v_sub_f32_e32 v1, v1, v6
	v_mul_f32_e32 v6, 0xbf29c268, v39
	v_pk_fma_f32 v[92:93], v[42:43], s[38:39], v[88:89] op_sel:[1,0,0] neg_lo:[1,0,0] neg_hi:[1,0,0]
	s_mov_b32 s22, s27
	s_mov_b32 s23, s15
	v_add_f32_e32 v1, v56, v1
	v_sub_f32_e32 v6, v51, v6
	v_pk_add_f32 v[66:67], v[66:67], v[92:93]
	s_mov_b32 s26, s25
	s_mov_b32 s27, s13
	v_pk_mul_f32 v[92:93], v[30:31], s[22:23] op_sel_hi:[0,1]
	v_add_f32_e32 v1, v1, v6
	v_mul_f32_e32 v6, 0x3f52af12, v43
	v_pk_fma_f32 v[96:97], v[36:37], s[26:27], v[92:93] op_sel:[1,0,0] neg_lo:[1,0,0] neg_hi:[1,0,0]
	s_mov_b32 s20, s14
	v_sub_f32_e32 v6, v57, v6
	v_pk_add_f32 v[66:67], v[66:67], v[96:97]
	s_mov_b32 s14, s12
	s_mov_b32 s15, s17
	v_pk_mul_f32 v[96:97], v[32:33], s[20:21] op_sel_hi:[0,1]
	v_add_f32_e32 v1, v1, v6
	v_mul_f32_e32 v6, 0xbf6f5d39, v37
	v_pk_fma_f32 v[100:101], v[40:41], s[14:15], v[96:97] op_sel:[1,0,0] neg_lo:[1,0,0] neg_hi:[1,0,0]
	v_sub_f32_e32 v6, v64, v6
	v_pk_add_f32 v[66:67], v[66:67], v[100:101]
	v_pk_fma_f32 v[62:63], v[58:59], s[16:17], v[62:63] op_sel:[1,0,0] neg_lo:[1,0,0] neg_hi:[1,0,0]
	v_pk_fma_f32 v[58:59], v[58:59], s[34:35], v[60:61] op_sel:[1,0,0]
	v_add_f32_e32 v1, v1, v6
	v_mul_f32_e32 v6, 0x3f7e222b, v41
	v_add_f32_e32 v10, v79, v78
	ds_write2_b32 v102, v66, v67 offset0:2 offset1:3
	v_pk_add_f32 v[62:63], v[46:47], v[62:63] op_sel:[1,0]
	v_pk_fma_f32 v[66:67], v[34:35], s[24:25], v[68:69] op_sel:[1,0,0] neg_lo:[1,0,0] neg_hi:[1,0,0]
	v_sub_f32_e32 v6, v65, v6
	v_add_f32_e32 v10, v47, v10
	v_pk_add_f32 v[46:47], v[46:47], v[58:59] op_sel:[1,0]
	v_pk_fma_f32 v[56:57], v[34:35], s[2:3], v[80:81] op_sel:[1,0,0]
	v_pk_add_f32 v[62:63], v[62:63], v[66:67]
	v_pk_fma_f32 v[66:67], v[38:39], s[12:13], v[70:71] op_sel:[1,0,0] neg_lo:[1,0,0] neg_hi:[1,0,0]
	v_add_f32_e32 v1, v1, v6
	v_add_f32_e32 v6, v83, v82
	v_pk_add_f32 v[46:47], v[46:47], v[56:57]
	v_pk_fma_f32 v[56:57], v[38:39], s[36:37], v[84:85] op_sel:[1,0,0]
	v_pk_add_f32 v[62:63], v[62:63], v[66:67]
	v_pk_fma_f32 v[66:67], v[42:43], s[28:29], v[72:73] op_sel:[1,0,0] neg_lo:[1,0,0] neg_hi:[1,0,0]
	v_add_f32_e32 v6, v10, v6
	v_add_f32_e32 v10, v87, v86
	v_pk_add_f32 v[46:47], v[46:47], v[56:57]
	;; [unrolled: 6-line block ×4, first 2 shown]
	v_pk_fma_f32 v[56:57], v[40:41], s[14:15], v[96:97] op_sel:[1,0,0]
	v_pk_add_f32 v[62:63], v[62:63], v[66:67]
	v_add_f32_e32 v6, v6, v10
	v_add_f32_e32 v10, v99, v98
	v_pk_add_f32 v[46:47], v[46:47], v[56:57]
	ds_write2_b32 v102, v62, v63 offset0:4 offset1:5
	v_add_f32_e32 v10, v6, v10
	ds_write2_b32 v102, v1, v7 offset0:6 offset1:7
	v_mov_b32_e32 v6, v47
	v_mov_b32_e32 v1, v46
	ds_write2_b32 v102, v47, v46 offset0:10 offset1:11
	ds_write_b32 v102, v10 offset:48
.LBB0_13:
	s_or_b64 exec, exec, s[4:5]
	v_pk_add_f32 v[46:47], v[22:23], v[8:9]
	v_mul_f32_e32 v14, 0x3f62ad3f, v13
	v_pk_add_f32 v[46:47], v[46:47], v[52:53]
	v_mul_f32_e32 v16, 0x3eedf032, v34
	v_pk_add_f32 v[46:47], v[46:47], v[48:49]
	v_sub_f32_e32 v6, v8, v44
	v_mul_f32_e32 v18, 0xbf3f9e67, v21
	v_mul_f32_e32 v24, 0xbf29c268, v38
	v_mov_b32_e32 v8, v47
	v_pk_add_f32 v[58:59], v[14:15], v[16:17]
	v_pk_add_f32 v[60:61], v[14:15], v[16:17] neg_lo:[0,1] neg_hi:[0,1]
	v_mul_f32_e32 v26, 0x3f116cb1, v29
	v_mul_f32_e32 v44, 0x3f52af12, v42
	v_pk_add_f32 v[52:53], v[8:9], v[54:55]
	v_mov_b32_e32 v59, v60
	v_pk_add_f32 v[60:61], v[18:19], v[24:25]
	v_pk_add_f32 v[62:63], v[18:19], v[24:25] neg_lo:[0,1] neg_hi:[0,1]
	v_mul_f32_e32 v10, 0xbe750f2a, v6
	v_mul_f32_e32 v8, 0xbf788fa5, v53
	v_mov_b32_e32 v61, v62
	v_pk_add_f32 v[62:63], v[26:27], v[44:45]
	v_pk_add_f32 v[44:45], v[26:27], v[44:45] neg_lo:[0,1] neg_hi:[0,1]
	v_mul_f32_e32 v46, 0xbeb58ec6, v31
	v_mov_b32_e32 v63, v44
	v_pk_add_f32 v[44:45], v[8:9], v[10:11]
	v_pk_add_f32 v[8:9], v[8:9], v[10:11] neg_lo:[0,1] neg_hi:[0,1]
	v_mul_f32_e32 v48, 0xbf6f5d39, v36
	v_mov_b32_e32 v45, v8
	v_pk_add_f32 v[8:9], v[22:23], v[44:45] op_sel:[1,0]
	v_pk_add_f32 v[44:45], v[46:47], v[48:49]
	v_pk_add_f32 v[8:9], v[8:9], v[58:59]
	v_pk_add_f32 v[46:47], v[46:47], v[48:49] neg_lo:[0,1] neg_hi:[0,1]
	v_pk_add_f32 v[8:9], v[8:9], v[60:61]
	v_mul_f32_e32 v54, 0x3df6dbef, v33
	v_mul_f32_e32 v56, 0x3f7e222b, v40
	v_pk_add_f32 v[8:9], v[8:9], v[62:63]
	v_mov_b32_e32 v45, v46
	v_lshl_add_u32 v1, v0, 2, 0
	v_pk_add_f32 v[8:9], v[8:9], v[44:45]
	v_pk_add_f32 v[58:59], v[54:55], v[56:57]
	v_pk_add_f32 v[44:45], v[54:55], v[56:57] neg_lo:[0,1] neg_hi:[0,1]
	v_add_u32_e32 v14, 0x200, v1
	v_add_u32_e32 v16, 0x600, v1
	v_mov_b32_e32 v59, v44
	s_waitcnt lgkmcnt(0)
	s_barrier
	ds_read2_b32 v[44:45], v1 offset1:104
	ds_read2_b32 v[46:47], v14 offset0:80 offset1:184
	ds_read2_b32 v[48:49], v16 offset0:32 offset1:136
	ds_read_b32 v10, v1 offset:2496
	v_pk_add_f32 v[8:9], v[8:9], v[58:59]
	s_waitcnt lgkmcnt(0)
	s_barrier
	s_and_saveexec_b64 s[2:3], s[0:1]
	s_cbranch_execz .LBB0_15
; %bb.14:
	v_mov_b32_e32 v58, v13
	v_mov_b32_e32 v59, v34
	s_mov_b32 s1, 0xbf52af12
	s_mov_b32 s0, 0x3f116cb1
	v_pk_mul_f32 v[60:61], v[58:59], s[0:1]
	s_mov_b32 s14, 0x3df6dbef
	v_mov_b32_e32 v51, v60
	v_sub_f32_e32 v24, v60, v61
	v_mov_b32_e32 v60, v21
	v_mov_b32_e32 v61, v38
	s_mov_b32 s15, 0xbf7e222b
	v_mov_b32_e32 v69, 0x3f62ad3f
	v_mov_b32_e32 v68, v15
	v_pk_mul_f32 v[62:63], v[60:61], s[14:15]
	v_pk_add_f32 v[70:71], v[52:53], v[68:69]
	v_pk_mul_f32 v[68:69], v[52:53], v[68:69]
	v_pk_fma_f32 v[58:59], v[58:59], s[0:1], v[50:51]
	v_mov_b32_e32 v51, v62
	v_sub_f32_e32 v26, v62, v63
	v_mov_b32_e32 v62, v29
	v_mov_b32_e32 v63, v42
	s_mov_b32 s5, 0xbf6f5d39
	s_mov_b32 s4, 0xbeb58ec6
	v_mov_b32_e32 v71, v69
	v_fmac_f32_e32 v69, 0x3eedf032, v6
	v_mul_f32_e32 v57, 0xbeedf032, v6
	v_pk_mul_f32 v[64:65], v[62:63], s[4:5]
	v_mov_b32_e32 v56, v11
	v_add_f32_e32 v11, v23, v69
	v_pk_fma_f32 v[60:61], v[60:61], s[14:15], v[50:51]
	v_mov_b32_e32 v51, v64
	v_sub_f32_e32 v72, v64, v65
	v_mov_b32_e32 v64, v31
	v_mov_b32_e32 v65, v36
	s_mov_b32 s13, 0xbf29c268
	s_mov_b32 s12, 0xbf3f9e67
	v_pk_add_f32 v[56:57], v[70:71], v[56:57]
	v_add_f32_e32 v11, v11, v24
	v_mov_b32_e32 v54, v23
	v_mov_b32_e32 v55, v23
	v_pk_fma_f32 v[62:63], v[62:63], s[4:5], v[50:51]
	v_pk_mul_f32 v[66:67], v[64:65], s[12:13]
	v_pk_add_f32 v[56:57], v[56:57], v[22:23]
	v_mov_b32_e32 v58, v17
	v_add_f32_e32 v11, v11, v26
	v_mov_b32_e32 v22, v33
	v_mov_b32_e32 v23, v40
	s_mov_b32 s19, 0xbe750f2a
	s_mov_b32 s18, 0xbf788fa5
	v_mov_b32_e32 v51, v66
	v_pk_add_f32 v[56:57], v[58:59], v[56:57]
	v_mov_b32_e32 v60, v19
	v_mov_b32_e32 v62, v25
	v_add_f32_e32 v11, v11, v72
	v_sub_f32_e32 v15, v66, v67
	v_pk_mul_f32 v[24:25], v[22:23], s[18:19]
	v_pk_fma_f32 v[64:65], v[64:65], s[12:13], v[50:51]
	v_pk_add_f32 v[18:19], v[60:61], v[56:57]
	v_add_f32_e32 v15, v11, v15
	v_mov_b32_e32 v11, v24
	v_pk_add_f32 v[18:19], v[62:63], v[18:19]
	v_mov_b32_e32 v64, v27
	v_pk_fma_f32 v[22:23], v[22:23], s[18:19], v[10:11]
	v_pk_add_f32 v[18:19], v[64:65], v[18:19]
	v_mov_b32_e32 v51, v23
	s_mov_b32 s22, s1
	s_mov_b32 s23, s15
	;; [unrolled: 1-line block ×4, first 2 shown]
	v_pk_add_f32 v[18:19], v[50:51], v[18:19]
	v_pk_mul_f32 v[22:23], v[6:7], s[22:23] op_sel_hi:[0,1]
	s_mov_b32 s24, s5
	s_mov_b32 s25, s19
	v_pk_mul_f32 v[50:51], v[38:39], s[26:27] op_sel_hi:[0,1]
	s_mov_b32 s26, s0
	s_mov_b32 s27, s14
	v_sub_f32_e32 v11, v24, v25
	s_mov_b32 s22, s4
	s_mov_b32 s23, s18
	v_pk_mul_f32 v[24:25], v[34:35], s[24:25] op_sel_hi:[0,1]
	v_pk_fma_f32 v[62:63], v[52:53], s[26:27], v[22:23] op_sel:[1,0,0]
	s_mov_b32 s21, 0x3eedf032
	v_pk_fma_f32 v[26:27], v[12:13], s[22:23], v[24:25] op_sel:[1,0,0]
	s_mov_b32 s24, s18
	s_mov_b32 s25, s4
	;; [unrolled: 1-line block ×3, first 2 shown]
	v_pk_add_f32 v[62:63], v[54:55], v[62:63]
	v_pk_fma_f32 v[22:23], v[52:53], s[26:27], v[22:23] op_sel:[1,0,0] neg_lo:[0,0,1] neg_hi:[0,0,1]
	s_mov_b32 s17, 0x3f62ad3f
	v_pk_fma_f32 v[56:57], v[20:21], s[24:25], v[50:51] op_sel:[1,0,0]
	s_mov_b32 s16, s12
	v_pk_mul_f32 v[58:59], v[42:43], s[20:21] op_sel_hi:[0,1]
	v_pk_add_f32 v[26:27], v[62:63], v[26:27]
	s_mov_b32 s30, 0x3f7e222b
	s_mov_b32 s31, s1
	v_pk_fma_f32 v[24:25], v[12:13], s[22:23], v[24:25] op_sel:[1,0,0] neg_lo:[0,0,1] neg_hi:[0,0,1]
	v_pk_add_f32 v[22:23], v[54:55], v[22:23]
	v_pk_fma_f32 v[60:61], v[28:29], s[16:17], v[58:59] op_sel:[1,0,0]
	v_pk_add_f32 v[26:27], v[26:27], v[56:57]
	s_mov_b32 s28, s14
	s_mov_b32 s29, s0
	v_pk_mul_f32 v[56:57], v[36:37], s[30:31] op_sel_hi:[0,1]
	v_pk_fma_f32 v[50:51], v[20:21], s[24:25], v[50:51] op_sel:[1,0,0] neg_lo:[0,0,1] neg_hi:[0,0,1]
	v_pk_add_f32 v[22:23], v[22:23], v[24:25]
	v_pk_add_f32 v[26:27], v[26:27], v[60:61]
	v_pk_fma_f32 v[60:61], v[30:31], s[28:29], v[56:57] op_sel:[1,0,0]
	s_mov_b32 s36, s21
	s_mov_b32 s37, s13
	v_pk_fma_f32 v[58:59], v[28:29], s[16:17], v[58:59] op_sel:[1,0,0] neg_lo:[0,0,1] neg_hi:[0,0,1]
	v_pk_add_f32 v[22:23], v[22:23], v[50:51]
	v_pk_add_f32 v[26:27], v[26:27], v[60:61]
	s_mov_b32 s34, s17
	s_mov_b32 s35, s12
	v_pk_mul_f32 v[60:61], v[40:41], s[36:37] op_sel_hi:[0,1]
	v_pk_add_f32 v[22:23], v[22:23], v[58:59]
	v_pk_fma_f32 v[24:25], v[30:31], s[28:29], v[56:57] op_sel:[1,0,0] neg_lo:[0,0,1] neg_hi:[0,0,1]
	s_mov_b32 s22, s5
	v_pk_add_f32 v[22:23], v[22:23], v[24:25]
	v_pk_fma_f32 v[24:25], v[32:33], s[34:35], v[60:61] op_sel:[1,0,0] neg_lo:[0,0,1] neg_hi:[0,0,1]
	s_mov_b32 s23, s13
	s_mov_b32 s24, s21
	;; [unrolled: 1-line block ×3, first 2 shown]
	v_pk_add_f32 v[22:23], v[22:23], v[24:25]
	v_pk_mul_f32 v[24:25], v[6:7], s[22:23] op_sel_hi:[0,1]
	s_mov_b32 s13, s14
	s_mov_b32 s22, s20
	;; [unrolled: 1-line block ×3, first 2 shown]
	v_pk_mul_f32 v[38:39], v[38:39], s[24:25] op_sel_hi:[0,1]
	s_mov_b32 s24, s14
	s_mov_b32 s26, s15
	;; [unrolled: 1-line block ×4, first 2 shown]
	v_pk_fma_f32 v[62:63], v[32:33], s[34:35], v[60:61] op_sel:[1,0,0]
	v_pk_mul_f32 v[34:35], v[34:35], s[22:23] op_sel_hi:[0,1]
	v_pk_fma_f32 v[60:61], v[52:53], s[14:15], v[24:25] op_sel:[1,0,0]
	v_pk_fma_f32 v[24:25], v[52:53], s[14:15], v[24:25] op_sel:[1,0,0] neg_lo:[0,0,1] neg_hi:[0,0,1]
	v_pk_fma_f32 v[50:51], v[12:13], s[12:13], v[34:35] op_sel:[1,0,0]
	s_mov_b32 s22, s17
	s_mov_b32 s23, s0
	;; [unrolled: 1-line block ×3, first 2 shown]
	v_pk_add_f32 v[60:61], v[54:55], v[60:61]
	v_pk_fma_f32 v[12:13], v[12:13], s[12:13], v[34:35] op_sel:[1,0,0] neg_lo:[0,0,1] neg_hi:[0,0,1]
	v_pk_add_f32 v[24:25], v[54:55], v[24:25]
	v_pk_fma_f32 v[56:57], v[20:21], s[22:23], v[38:39] op_sel:[1,0,0]
	s_mov_b32 s25, s18
	v_pk_mul_f32 v[42:43], v[42:43], s[26:27] op_sel_hi:[0,1]
	v_pk_add_f32 v[50:51], v[60:61], v[50:51]
	s_mov_b32 s20, s27
	v_pk_fma_f32 v[20:21], v[20:21], s[22:23], v[38:39] op_sel:[1,0,0] neg_lo:[0,0,1] neg_hi:[0,0,1]
	v_pk_add_f32 v[12:13], v[24:25], v[12:13]
	v_pk_fma_f32 v[58:59], v[28:29], s[24:25], v[42:43] op_sel:[1,0,0]
	v_pk_add_f32 v[50:51], v[50:51], v[56:57]
	s_mov_b32 s19, s17
	v_pk_mul_f32 v[36:37], v[36:37], s[20:21] op_sel_hi:[0,1]
	s_mov_b32 s1, s4
	s_mov_b32 s4, 0x3f52af12
	v_pk_fma_f32 v[28:29], v[28:29], s[24:25], v[42:43] op_sel:[1,0,0] neg_lo:[0,0,1] neg_hi:[0,0,1]
	v_pk_add_f32 v[12:13], v[12:13], v[20:21]
	v_pk_add_f32 v[50:51], v[50:51], v[58:59]
	v_pk_fma_f32 v[56:57], v[30:31], s[18:19], v[36:37] op_sel:[1,0,0]
	v_pk_mul_f32 v[40:41], v[40:41], s[4:5] op_sel_hi:[0,1]
	v_pk_add_f32 v[12:13], v[12:13], v[28:29]
	v_pk_fma_f32 v[20:21], v[30:31], s[18:19], v[36:37] op_sel:[1,0,0] neg_lo:[0,0,1] neg_hi:[0,0,1]
	v_pk_add_f32 v[50:51], v[50:51], v[56:57]
	v_pk_fma_f32 v[56:57], v[32:33], s[0:1], v[40:41] op_sel:[1,0,0]
	v_pk_add_f32 v[12:13], v[12:13], v[20:21]
	v_pk_fma_f32 v[20:21], v[32:33], s[0:1], v[40:41] op_sel:[1,0,0] neg_lo:[0,0,1] neg_hi:[0,0,1]
	v_mad_u32_u24 v17, v0, 48, v1
	v_add_f32_e32 v15, v15, v11
	v_pk_add_f32 v[26:27], v[26:27], v[62:63]
	v_pk_add_f32 v[50:51], v[50:51], v[56:57]
	;; [unrolled: 1-line block ×3, first 2 shown]
	ds_write2_b32 v17, v18, v19 offset1:1
	ds_write2_b32 v17, v26, v27 offset0:2 offset1:3
	ds_write2_b32 v17, v50, v51 offset0:4 offset1:5
	;; [unrolled: 1-line block ×4, first 2 shown]
	v_mov_b32_e32 v6, v23
	v_mov_b32_e32 v11, v22
	ds_write2_b32 v17, v23, v22 offset0:10 offset1:11
	ds_write_b32 v17, v15 offset:48
.LBB0_15:
	s_or_b64 exec, exec, s[2:3]
	s_movk_i32 s0, 0x4f
	v_mul_lo_u16_sdwa v6, v0, s0 dst_sel:DWORD dst_unused:UNUSED_PAD src0_sel:BYTE_0 src1_sel:DWORD
	v_lshrrev_b16_e32 v33, 10, v6
	v_mul_lo_u16_e32 v6, 13, v33
	v_sub_u16_e32 v54, v0, v6
	v_mov_b32_e32 v6, 6
	v_mul_u32_u24_sdwa v6, v54, v6 dst_sel:DWORD dst_unused:UNUSED_PAD src0_sel:BYTE_0 src1_sel:DWORD
	v_lshlrev_b32_e32 v6, 3, v6
	s_load_dwordx2 s[4:5], s[10:11], 0x0
	s_waitcnt lgkmcnt(0)
	s_barrier
	global_load_dwordx4 v[22:25], v6, s[8:9]
	global_load_dwordx4 v[26:29], v6, s[8:9] offset:16
	global_load_dwordx4 v[34:37], v6, s[8:9] offset:32
	ds_read2_b32 v[18:19], v1 offset1:104
	ds_read2_b32 v[12:13], v14 offset0:80 offset1:184
	ds_read2_b32 v[14:15], v16 offset0:32 offset1:136
	ds_read_b32 v16, v1 offset:2496
	v_mov_b32_e32 v6, v49
	v_mov_b32_e32 v11, v47
	v_mov_b32_e32 v21, v48
	s_waitcnt lgkmcnt(1)
	v_mov_b32_e32 v40, v15
	v_mov_b32_e32 v42, v15
	v_mov_b32_e32 v38, v19
	v_mov_b32_e32 v39, v14
	v_mov_b32_e32 v17, v13
	v_mov_b32_e32 v20, v45
	s_mov_b32 s0, 0x3f5ff5aa
	s_mov_b32 s2, 0xbf08b237
	;; [unrolled: 1-line block ×6, first 2 shown]
	s_waitcnt lgkmcnt(0)
	s_barrier
	s_waitcnt vmcnt(2)
	v_mul_f32_e32 v8, v45, v23
	s_waitcnt vmcnt(1)
	v_mul_f32_e32 v31, v47, v27
	v_mul_f32_e32 v32, v48, v29
	v_pk_mul_f32 v[46:47], v[46:47], v[24:25] op_sel_hi:[0,1]
	s_waitcnt vmcnt(0)
	v_pk_mul_f32 v[52:53], v[6:7], v[34:35] op_sel_hi:[0,1]
	v_mul_f32_e32 v30, v10, v37
	v_mov_b32_e32 v48, v22
	v_mov_b32_e32 v49, v28
	;; [unrolled: 1-line block ×3, first 2 shown]
	v_fmac_f32_e32 v8, v19, v22
	v_fmac_f32_e32 v31, v13, v26
	v_fmac_f32_e32 v32, v14, v28
	v_mov_b32_e32 v28, v23
	v_mov_b32_e32 v26, v37
	v_pk_fma_f32 v[22:23], v[12:13], v[24:25], v[46:47] op_sel:[0,0,1] op_sel_hi:[1,1,0]
	v_pk_fma_f32 v[12:13], v[12:13], v[24:25], v[46:47] op_sel:[0,0,1] op_sel_hi:[0,1,0] neg_lo:[1,0,0] neg_hi:[1,0,0]
	v_pk_fma_f32 v[24:25], v[40:41], v[34:35], v[52:53] op_sel:[0,0,1] op_sel_hi:[1,1,0]
	v_pk_fma_f32 v[14:15], v[42:43], v[34:35], v[52:53] op_sel:[0,0,1] op_sel_hi:[0,1,0] neg_lo:[1,0,0] neg_hi:[1,0,0]
	v_mov_b32_e32 v50, v36
	v_fmac_f32_e32 v30, v16, v36
	v_pk_mul_f32 v[28:29], v[38:39], v[28:29]
	v_pk_mul_f32 v[16:17], v[16:17], v[26:27]
	v_mov_b32_e32 v23, v13
	v_mov_b32_e32 v25, v15
	v_sub_f32_e32 v14, v32, v31
	v_pk_fma_f32 v[26:27], v[20:21], v[48:49], v[28:29] neg_lo:[0,0,1] neg_hi:[0,0,1]
	v_pk_fma_f32 v[28:29], v[10:11], v[50:51], v[16:17] neg_lo:[0,0,1] neg_hi:[0,0,1]
	v_pk_add_f32 v[20:21], v[22:23], v[24:25] neg_lo:[0,1] neg_hi:[0,1]
	v_sub_f32_e32 v12, v8, v30
	v_pk_add_f32 v[10:11], v[22:23], v[24:25]
	v_pk_add_f32 v[34:35], v[26:27], v[28:29]
	v_add_f32_e32 v6, v14, v20
	v_add_f32_e32 v6, v6, v12
	;; [unrolled: 1-line block ×3, first 2 shown]
	v_mov_b32_e32 v17, v14
	v_mov_b32_e32 v10, v20
	;; [unrolled: 1-line block ×5, first 2 shown]
	v_mul_f32_e32 v36, 0x3ee1c552, v6
	v_add_f32_e32 v6, v35, v19
	v_mov_b32_e32 v35, v12
	v_pk_add_f32 v[14:15], v[14:15], v[10:11] neg_lo:[0,1] neg_hi:[0,1]
	v_pk_add_f32 v[12:13], v[10:11], v[12:13] neg_lo:[0,1] neg_hi:[0,1]
	;; [unrolled: 1-line block ×3, first 2 shown]
	v_add_f32_e32 v10, v44, v6
	v_pk_mul_f32 v[38:39], v[14:15], s[2:3]
	v_pk_mul_f32 v[12:13], v[12:13], s[0:1]
	;; [unrolled: 1-line block ×3, first 2 shown]
	v_fmamk_f32 v37, v6, 0xbf955555, v10
	v_mov_b32_e32 v38, v39
	v_xor_b32_e32 v39, 0x80000000, v12
	v_mov_b32_e32 v6, v41
	v_pk_fma_f32 v[42:43], v[14:15], s[2:3], v[12:13] neg_lo:[1,0,0] neg_hi:[1,0,0]
	v_pk_fma_f32 v[14:15], v[14:15], s[2:3], v[6:7]
	v_pk_fma_f32 v[44:45], v[16:17], s[10:11], v[38:39]
	v_pk_fma_f32 v[16:17], v[16:17], s[10:11], v[38:39] neg_lo:[1,0,0] neg_hi:[1,0,0]
	v_mov_b32_e32 v35, v36
	v_mov_b32_e32 v34, v37
	;; [unrolled: 1-line block ×3, first 2 shown]
	v_sub_f32_e64 v15, -v40, v13
	v_pk_add_f32 v[42:43], v[36:37], v[42:43]
	v_pk_add_f32 v[36:37], v[36:37], v[14:15]
	;; [unrolled: 1-line block ×3, first 2 shown]
	v_mov_b32_e32 v13, 2
	v_add_f32_e32 v12, v42, v43
	v_mov_b32_e32 v16, v43
	v_mov_b32_e32 v17, v37
	v_mov_b32_e32 v43, v35
	v_mul_u32_u24_e32 v11, 0x16c, v33
	v_lshlrev_b32_sdwa v13, v13, v54 dst_sel:DWORD dst_unused:UNUSED_PAD src0_sel:DWORD src1_sel:BYTE_0
	s_movk_i32 s0, 0x5b
	s_movk_i32 s2, 0x5a
	v_pk_add_f32 v[14:15], v[34:35], v[36:37]
	v_pk_add_f32 v[16:17], v[16:17], v[42:43] neg_lo:[0,1] neg_hi:[0,1]
	v_sub_f32_e32 v6, v34, v36
	v_add3_u32 v33, 0, v11, v13
	v_cmp_gt_u32_e64 s[0:1], s0, v0
	v_cmp_lt_u32_e64 s[2:3], s2, v0
	ds_write2_b32 v33, v10, v14 offset1:13
	ds_write2_b32 v33, v15, v16 offset0:26 offset1:39
	ds_write2_b32 v33, v12, v17 offset0:52 offset1:65
	ds_write_b32 v33, v6 offset:312
	s_waitcnt lgkmcnt(0)
	s_barrier
	s_and_saveexec_b64 s[10:11], s[2:3]
	s_xor_b64 s[10:11], exec, s[10:11]
	s_andn2_saveexec_b64 s[10:11], s[10:11]
	s_cbranch_execz .LBB0_17
; %bb.16:
	v_add_u32_e32 v6, 0x200, v1
	ds_read2_b32 v[16:17], v6 offset0:54 offset1:145
	v_add_u32_e32 v6, 0x400, v1
	ds_read2_b32 v[10:11], v1 offset1:91
	ds_read2_b32 v[12:13], v6 offset0:108 offset1:199
	v_add_u32_e32 v6, 0x800, v1
	ds_read2_b32 v[6:7], v6 offset0:34 offset1:125
	s_waitcnt lgkmcnt(3)
	v_mov_b32_e32 v15, v16
	s_waitcnt lgkmcnt(2)
	v_mov_b32_e32 v14, v11
	v_mov_b32_e32 v16, v17
	s_waitcnt lgkmcnt(1)
	v_mov_b32_e32 v17, v13
.LBB0_17:
	s_or_b64 exec, exec, s[10:11]
	v_mov_b32_e32 v23, v8
	v_mov_b32_e32 v25, v30
	v_pk_add_f32 v[22:23], v[22:23], v[24:25]
	v_add_f32_e32 v32, v31, v32
	v_mov_b32_e32 v8, v23
	v_pk_add_f32 v[24:25], v[22:23], v[8:9]
	v_pk_add_f32 v[26:27], v[26:27], v[28:29] neg_lo:[0,1] neg_hi:[0,1]
	v_mov_b32_e32 v25, v22
	v_sub_f32_e32 v11, v23, v32
	v_sub_f32_e32 v30, v22, v23
	v_mov_b32_e32 v20, v27
	v_pk_add_f32 v[22:23], v[32:33], v[24:25] op_sel_hi:[0,1]
	v_pk_add_f32 v[24:25], v[32:33], v[24:25] op_sel_hi:[0,1] neg_lo:[0,1] neg_hi:[0,1]
	s_mov_b32 s10, 0xbf955555
	s_mov_b32 s12, 0x3eae86e6
	v_pk_add_f32 v[28:29], v[26:27], v[20:21] neg_lo:[0,1] neg_hi:[0,1]
	v_sub_f32_e32 v31, v21, v26
	v_mov_b32_e32 v23, v25
	v_add_f32_e32 v8, v27, v21
	v_add_f32_e32 v18, v18, v22
	s_mov_b32 s11, 0xbd64c772
	v_mul_f32_e32 v19, 0x3f3bfb3b, v30
	s_mov_b32 s13, 0xbf08b237
	v_mul_f32_e32 v25, 0x3d64c772, v25
	v_mul_f32_e32 v13, 0x3f4a47b2, v11
	v_add_f32_e32 v32, v8, v26
	v_pk_mul_f32 v[20:21], v[28:29], s[12:13]
	v_mul_f32_e32 v24, 0x3f5ff5aa, v31
	v_fmac_f32_e32 v25, 0x3f4a47b2, v11
	v_pk_fma_f32 v[22:23], v[22:23], s[10:11], v[18:19]
	s_mov_b32 s10, 0xbf3bfb3b
	v_mul_f32_e32 v8, 0x3ee1c552, v32
	v_fma_f32 v26, v30, s10, -v13
	v_add_f32_e32 v11, v21, v20
	v_pk_fma_f32 v[20:21], v[28:29], s[12:13], v[24:25] op_sel_hi:[1,1,0] neg_lo:[1,0,1] neg_hi:[1,0,0]
	v_mov_b32_e32 v27, v22
	v_add_f32_e32 v13, v25, v22
	v_pk_add_f32 v[22:23], v[22:23], v[26:27]
	v_fmac_f32_e32 v11, 0x3ee1c552, v32
	v_pk_add_f32 v[24:25], v[8:9], v[20:21] op_sel_hi:[0,1]
	v_sub_f32_e32 v19, v13, v11
	v_pk_add_f32 v[20:21], v[22:23], v[24:25] neg_lo:[0,1] neg_hi:[0,1]
	v_pk_add_f32 v[22:23], v[24:25], v[22:23]
	v_add_f32_e32 v8, v11, v13
	s_waitcnt lgkmcnt(0)
	s_barrier
	ds_write2_b32 v33, v18, v19 offset1:13
	ds_write2_b32 v33, v20, v23 offset0:26 offset1:39
	ds_write2_b32 v33, v21, v22 offset0:52 offset1:65
	ds_write_b32 v33, v8 offset:312
	s_waitcnt lgkmcnt(0)
	s_barrier
	s_and_saveexec_b64 s[10:11], s[2:3]
	s_xor_b64 s[2:3], exec, s[10:11]
	s_cbranch_execnz .LBB0_21
; %bb.18:
	s_andn2_saveexec_b64 s[2:3], s[2:3]
	s_cbranch_execnz .LBB0_22
.LBB0_19:
	s_or_b64 exec, exec, s[2:3]
	s_and_b64 s[0:1], vcc, s[0:1]
	s_and_saveexec_b64 s[2:3], s[0:1]
	s_cbranch_execnz .LBB0_23
.LBB0_20:
	s_endpgm
.LBB0_21:
                                        ; implicit-def: $vgpr1
	s_andn2_saveexec_b64 s[2:3], s[2:3]
	s_cbranch_execz .LBB0_19
.LBB0_22:
	v_add_u32_e32 v9, 0x400, v1
	ds_read2_b32 v[18:19], v1 offset1:91
	v_add_u32_e32 v8, 0x200, v1
	ds_read2_b32 v[24:25], v9 offset0:108 offset1:199
	ds_read2_b32 v[20:21], v8 offset0:54 offset1:145
	v_add_u32_e32 v1, 0x800, v1
	ds_read2_b32 v[8:9], v1 offset0:34 offset1:125
	s_waitcnt lgkmcnt(2)
	v_mov_b32_e32 v22, v25
	s_waitcnt lgkmcnt(1)
	v_mov_b32_e32 v23, v21
	v_mov_b32_e32 v21, v24
	s_or_b64 exec, exec, s[2:3]
	s_and_b64 s[0:1], vcc, s[0:1]
	s_and_saveexec_b64 s[2:3], s[0:1]
	s_cbranch_execz .LBB0_20
.LBB0_23:
	v_mul_u32_u24_e32 v1, 7, v0
	v_lshlrev_b32_e32 v1, 3, v1
	global_load_dwordx4 v[24:27], v1, s[8:9] offset:640
	global_load_dwordx4 v[28:31], v1, s[8:9] offset:624
	global_load_dwordx4 v[32:35], v1, s[8:9] offset:656
	global_load_dwordx2 v[36:37], v1, s[8:9] offset:672
	v_mul_lo_u32 v13, s5, v4
	v_mul_lo_u32 v39, s4, v5
	v_mad_u64_u32 v[4:5], s[0:1], s4, v4, 0
	v_add3_u32 v5, v5, v39, v13
	v_lshl_add_u64 v[4:5], v[4:5], 3, s[6:7]
	v_mov_b32_e32 v1, 0
	s_waitcnt lgkmcnt(0)
	v_mov_b32_e32 v40, v9
	v_mov_b32_e32 v42, v19
	v_lshl_add_u64 v[2:3], v[2:3], 3, v[4:5]
	v_mov_b32_e32 v11, v18
	v_mov_b32_e32 v18, v7
	;; [unrolled: 1-line block ×3, first 2 shown]
	v_lshl_add_u64 v[0:1], v[0:1], 3, v[2:3]
	s_mov_b32 s0, 0x3f3504f3
	s_waitcnt vmcnt(3)
	v_pk_mul_f32 v[2:3], v[20:21], v[26:27] op_sel:[1,0]
	s_waitcnt vmcnt(2)
	v_pk_mul_f32 v[4:5], v[20:21], v[30:31] op_sel_hi:[0,1]
	s_waitcnt vmcnt(1)
	v_pk_mul_f32 v[8:9], v[8:9], v[34:35] op_sel_hi:[0,1]
	v_pk_mul_f32 v[20:21], v[22:23], v[24:25] op_sel:[1,0]
	s_waitcnt vmcnt(0)
	v_pk_mul_f32 v[40:41], v[40:41], v[36:37] op_sel_hi:[0,1]
	v_pk_mul_f32 v[42:43], v[42:43], v[28:29] op_sel_hi:[0,1]
	;; [unrolled: 1-line block ×3, first 2 shown]
	v_pk_fma_f32 v[44:45], v[12:13], v[26:27], v[2:3] op_sel:[0,0,1] op_sel_hi:[1,1,0] neg_lo:[0,0,1] neg_hi:[0,0,1]
	v_pk_fma_f32 v[2:3], v[12:13], v[26:27], v[2:3] op_sel:[0,0,1] op_sel_hi:[0,1,0]
	v_pk_fma_f32 v[12:13], v[14:15], v[30:31], v[4:5] op_sel:[1,0,1] op_sel_hi:[1,1,0] neg_lo:[0,0,1] neg_hi:[0,0,1]
	v_pk_fma_f32 v[4:5], v[14:15], v[30:31], v[4:5] op_sel:[1,0,1] op_sel_hi:[1,1,0]
	;; [unrolled: 2-line block ×7, first 2 shown]
	v_mov_b32_e32 v45, v3
	v_mov_b32_e32 v13, v5
	;; [unrolled: 1-line block ×7, first 2 shown]
	v_pk_add_f32 v[2:3], v[10:11], v[44:45] neg_lo:[0,1] neg_hi:[0,1]
	v_pk_add_f32 v[4:5], v[12:13], v[26:27] neg_lo:[0,1] neg_hi:[0,1]
	;; [unrolled: 1-line block ×4, first 2 shown]
	v_pk_fma_f32 v[10:11], v[10:11], 2.0, v[2:3] op_sel_hi:[1,0,1] neg_lo:[0,0,1] neg_hi:[0,0,1]
	v_pk_fma_f32 v[12:13], v[12:13], 2.0, v[4:5] op_sel_hi:[1,0,1] neg_lo:[0,0,1] neg_hi:[0,0,1]
	;; [unrolled: 1-line block ×4, first 2 shown]
	v_pk_add_f32 v[18:19], v[2:3], v[4:5] op_sel:[0,1] op_sel_hi:[1,0] neg_lo:[0,1] neg_hi:[0,1]
	v_pk_add_f32 v[4:5], v[2:3], v[4:5] op_sel:[0,1] op_sel_hi:[1,0]
	v_pk_add_f32 v[20:21], v[14:15], v[6:7] op_sel:[0,1] op_sel_hi:[1,0] neg_lo:[0,1] neg_hi:[0,1]
	v_pk_add_f32 v[6:7], v[14:15], v[6:7] op_sel:[0,1] op_sel_hi:[1,0]
	v_pk_add_f32 v[12:13], v[10:11], v[12:13] neg_lo:[0,1] neg_hi:[0,1]
	v_pk_add_f32 v[8:9], v[16:17], v[8:9] neg_lo:[0,1] neg_hi:[0,1]
	v_mov_b32_e32 v19, v5
	v_mov_b32_e32 v21, v7
	v_pk_fma_f32 v[4:5], v[10:11], 2.0, v[12:13] op_sel_hi:[1,0,1] neg_lo:[0,0,1] neg_hi:[0,0,1]
	v_pk_fma_f32 v[6:7], v[16:17], 2.0, v[8:9] op_sel_hi:[1,0,1] neg_lo:[0,0,1] neg_hi:[0,0,1]
	;; [unrolled: 1-line block ×4, first 2 shown]
	v_pk_add_f32 v[14:15], v[12:13], v[8:9] op_sel:[0,1] op_sel_hi:[1,0] neg_lo:[0,1] neg_hi:[0,1]
	v_pk_add_f32 v[8:9], v[12:13], v[8:9] op_sel:[0,1] op_sel_hi:[1,0]
	v_pk_mul_f32 v[16:17], v[20:21], s[0:1] op_sel_hi:[1,0]
	v_pk_fma_f32 v[20:21], v[20:21], s[0:1], v[18:19] op_sel_hi:[1,0,1]
	v_pk_add_f32 v[6:7], v[4:5], v[6:7] neg_lo:[0,1] neg_hi:[0,1]
	v_pk_mul_f32 v[22:23], v[10:11], s[0:1] op_sel_hi:[1,0]
	v_pk_fma_f32 v[10:11], v[10:11], s[0:1], v[2:3] op_sel_hi:[1,0,1] neg_lo:[1,0,0] neg_hi:[1,0,0]
	v_mov_b32_e32 v15, v9
	v_pk_add_f32 v[8:9], v[20:21], v[16:17] op_sel:[0,1] op_sel_hi:[1,0] neg_lo:[0,1] neg_hi:[0,1]
	v_pk_add_f32 v[16:17], v[20:21], v[16:17] op_sel:[0,1] op_sel_hi:[1,0]
	v_pk_fma_f32 v[4:5], v[4:5], 2.0, v[6:7] op_sel_hi:[1,0,1] neg_lo:[0,0,1] neg_hi:[0,0,1]
	v_pk_add_f32 v[20:21], v[10:11], v[22:23] op_sel:[0,1] op_sel_hi:[1,0] neg_lo:[0,1] neg_hi:[0,1]
	v_pk_add_f32 v[10:11], v[10:11], v[22:23] op_sel:[0,1] op_sel_hi:[1,0]
	v_mov_b32_e32 v9, v17
	v_pk_fma_f32 v[12:13], v[12:13], 2.0, v[14:15] op_sel_hi:[1,0,1] neg_lo:[0,0,1] neg_hi:[0,0,1]
	global_store_dwordx2 v[0:1], v[6:7], off offset:2912
	global_store_dwordx2 v[0:1], v[4:5], off
	v_mov_b32_e32 v21, v11
	v_pk_fma_f32 v[4:5], v[18:19], 2.0, v[8:9] op_sel_hi:[1,0,1] neg_lo:[0,0,1] neg_hi:[0,0,1]
	global_store_dwordx2 v[0:1], v[12:13], off offset:1456
	v_pk_fma_f32 v[2:3], v[2:3], 2.0, v[20:21] op_sel_hi:[1,0,1] neg_lo:[0,0,1] neg_hi:[0,0,1]
	global_store_dwordx2 v[0:1], v[4:5], off offset:2184
	global_store_dwordx2 v[0:1], v[20:21], off offset:3640
	;; [unrolled: 1-line block ×3, first 2 shown]
	v_add_co_u32_e32 v0, vcc, 0x1000, v0
	s_nop 1
	v_addc_co_u32_e32 v1, vcc, 0, v1, vcc
	global_store_dwordx2 v[0:1], v[14:15], off offset:272
	global_store_dwordx2 v[0:1], v[8:9], off offset:1000
	s_endpgm
	.section	.rodata,"a",@progbits
	.p2align	6, 0x0
	.amdhsa_kernel fft_rtc_fwd_len728_factors_13_7_8_wgs_104_tpt_104_halfLds_sp_op_CI_CI_unitstride_sbrr_dirReg
		.amdhsa_group_segment_fixed_size 0
		.amdhsa_private_segment_fixed_size 0
		.amdhsa_kernarg_size 104
		.amdhsa_user_sgpr_count 2
		.amdhsa_user_sgpr_dispatch_ptr 0
		.amdhsa_user_sgpr_queue_ptr 0
		.amdhsa_user_sgpr_kernarg_segment_ptr 1
		.amdhsa_user_sgpr_dispatch_id 0
		.amdhsa_user_sgpr_kernarg_preload_length 0
		.amdhsa_user_sgpr_kernarg_preload_offset 0
		.amdhsa_user_sgpr_private_segment_size 0
		.amdhsa_uses_dynamic_stack 0
		.amdhsa_enable_private_segment 0
		.amdhsa_system_sgpr_workgroup_id_x 1
		.amdhsa_system_sgpr_workgroup_id_y 0
		.amdhsa_system_sgpr_workgroup_id_z 0
		.amdhsa_system_sgpr_workgroup_info 0
		.amdhsa_system_vgpr_workitem_id 0
		.amdhsa_next_free_vgpr 103
		.amdhsa_next_free_sgpr 40
		.amdhsa_accum_offset 104
		.amdhsa_reserve_vcc 1
		.amdhsa_float_round_mode_32 0
		.amdhsa_float_round_mode_16_64 0
		.amdhsa_float_denorm_mode_32 3
		.amdhsa_float_denorm_mode_16_64 3
		.amdhsa_dx10_clamp 1
		.amdhsa_ieee_mode 1
		.amdhsa_fp16_overflow 0
		.amdhsa_tg_split 0
		.amdhsa_exception_fp_ieee_invalid_op 0
		.amdhsa_exception_fp_denorm_src 0
		.amdhsa_exception_fp_ieee_div_zero 0
		.amdhsa_exception_fp_ieee_overflow 0
		.amdhsa_exception_fp_ieee_underflow 0
		.amdhsa_exception_fp_ieee_inexact 0
		.amdhsa_exception_int_div_zero 0
	.end_amdhsa_kernel
	.text
.Lfunc_end0:
	.size	fft_rtc_fwd_len728_factors_13_7_8_wgs_104_tpt_104_halfLds_sp_op_CI_CI_unitstride_sbrr_dirReg, .Lfunc_end0-fft_rtc_fwd_len728_factors_13_7_8_wgs_104_tpt_104_halfLds_sp_op_CI_CI_unitstride_sbrr_dirReg
                                        ; -- End function
	.section	.AMDGPU.csdata,"",@progbits
; Kernel info:
; codeLenInByte = 6532
; NumSgprs: 46
; NumVgprs: 103
; NumAgprs: 0
; TotalNumVgprs: 103
; ScratchSize: 0
; MemoryBound: 0
; FloatMode: 240
; IeeeMode: 1
; LDSByteSize: 0 bytes/workgroup (compile time only)
; SGPRBlocks: 5
; VGPRBlocks: 12
; NumSGPRsForWavesPerEU: 46
; NumVGPRsForWavesPerEU: 103
; AccumOffset: 104
; Occupancy: 4
; WaveLimiterHint : 1
; COMPUTE_PGM_RSRC2:SCRATCH_EN: 0
; COMPUTE_PGM_RSRC2:USER_SGPR: 2
; COMPUTE_PGM_RSRC2:TRAP_HANDLER: 0
; COMPUTE_PGM_RSRC2:TGID_X_EN: 1
; COMPUTE_PGM_RSRC2:TGID_Y_EN: 0
; COMPUTE_PGM_RSRC2:TGID_Z_EN: 0
; COMPUTE_PGM_RSRC2:TIDIG_COMP_CNT: 0
; COMPUTE_PGM_RSRC3_GFX90A:ACCUM_OFFSET: 25
; COMPUTE_PGM_RSRC3_GFX90A:TG_SPLIT: 0
	.text
	.p2alignl 6, 3212836864
	.fill 256, 4, 3212836864
	.type	__hip_cuid_123bd5f945e1414d,@object ; @__hip_cuid_123bd5f945e1414d
	.section	.bss,"aw",@nobits
	.globl	__hip_cuid_123bd5f945e1414d
__hip_cuid_123bd5f945e1414d:
	.byte	0                               ; 0x0
	.size	__hip_cuid_123bd5f945e1414d, 1

	.ident	"AMD clang version 19.0.0git (https://github.com/RadeonOpenCompute/llvm-project roc-6.4.0 25133 c7fe45cf4b819c5991fe208aaa96edf142730f1d)"
	.section	".note.GNU-stack","",@progbits
	.addrsig
	.addrsig_sym __hip_cuid_123bd5f945e1414d
	.amdgpu_metadata
---
amdhsa.kernels:
  - .agpr_count:     0
    .args:
      - .actual_access:  read_only
        .address_space:  global
        .offset:         0
        .size:           8
        .value_kind:     global_buffer
      - .offset:         8
        .size:           8
        .value_kind:     by_value
      - .actual_access:  read_only
        .address_space:  global
        .offset:         16
        .size:           8
        .value_kind:     global_buffer
      - .actual_access:  read_only
        .address_space:  global
        .offset:         24
        .size:           8
        .value_kind:     global_buffer
      - .actual_access:  read_only
        .address_space:  global
        .offset:         32
        .size:           8
        .value_kind:     global_buffer
      - .offset:         40
        .size:           8
        .value_kind:     by_value
      - .actual_access:  read_only
        .address_space:  global
        .offset:         48
        .size:           8
        .value_kind:     global_buffer
      - .actual_access:  read_only
        .address_space:  global
        .offset:         56
        .size:           8
        .value_kind:     global_buffer
      - .offset:         64
        .size:           4
        .value_kind:     by_value
      - .actual_access:  read_only
        .address_space:  global
        .offset:         72
        .size:           8
        .value_kind:     global_buffer
      - .actual_access:  read_only
        .address_space:  global
        .offset:         80
        .size:           8
        .value_kind:     global_buffer
      - .actual_access:  read_only
        .address_space:  global
        .offset:         88
        .size:           8
        .value_kind:     global_buffer
      - .actual_access:  write_only
        .address_space:  global
        .offset:         96
        .size:           8
        .value_kind:     global_buffer
    .group_segment_fixed_size: 0
    .kernarg_segment_align: 8
    .kernarg_segment_size: 104
    .language:       OpenCL C
    .language_version:
      - 2
      - 0
    .max_flat_workgroup_size: 104
    .name:           fft_rtc_fwd_len728_factors_13_7_8_wgs_104_tpt_104_halfLds_sp_op_CI_CI_unitstride_sbrr_dirReg
    .private_segment_fixed_size: 0
    .sgpr_count:     46
    .sgpr_spill_count: 0
    .symbol:         fft_rtc_fwd_len728_factors_13_7_8_wgs_104_tpt_104_halfLds_sp_op_CI_CI_unitstride_sbrr_dirReg.kd
    .uniform_work_group_size: 1
    .uses_dynamic_stack: false
    .vgpr_count:     103
    .vgpr_spill_count: 0
    .wavefront_size: 64
amdhsa.target:   amdgcn-amd-amdhsa--gfx950
amdhsa.version:
  - 1
  - 2
...

	.end_amdgpu_metadata
